;; amdgpu-corpus repo=ROCm/rocFFT kind=compiled arch=gfx1100 opt=O3
	.text
	.amdgcn_target "amdgcn-amd-amdhsa--gfx1100"
	.amdhsa_code_object_version 6
	.protected	bluestein_single_fwd_len1536_dim1_dp_op_CI_CI ; -- Begin function bluestein_single_fwd_len1536_dim1_dp_op_CI_CI
	.globl	bluestein_single_fwd_len1536_dim1_dp_op_CI_CI
	.p2align	8
	.type	bluestein_single_fwd_len1536_dim1_dp_op_CI_CI,@function
bluestein_single_fwd_len1536_dim1_dp_op_CI_CI: ; @bluestein_single_fwd_len1536_dim1_dp_op_CI_CI
; %bb.0:
	s_load_b128 s[8:11], s[0:1], 0x28
	s_mov_b32 s2, s15
	s_mov_b32 s3, 0
	s_mov_b32 s5, exec_lo
	s_waitcnt lgkmcnt(0)
	v_cmpx_lt_u64_e64 s[2:3], s[8:9]
	s_cbranch_execz .LBB0_23
; %bb.1:
	s_clause 0x1
	s_load_b64 s[12:13], s[0:1], 0x0
	s_load_b64 s[8:9], s[0:1], 0x38
	v_dual_mov_b32 v158, s3 :: v_dual_mov_b32 v157, s2
	v_cmp_gt_u32_e32 vcc_lo, 0x60, v0
	v_lshlrev_b32_e32 v158, 4, v0
	v_or_b32_e32 v160, 0x180, v0
	v_or_b32_e32 v159, 0x480, v0
	s_and_saveexec_b32 s3, vcc_lo
	s_cbranch_execz .LBB0_3
; %bb.2:
	s_load_b64 s[4:5], s[0:1], 0x18
	s_waitcnt lgkmcnt(0)
	v_add_co_u32 v34, s2, s12, v158
	s_delay_alu instid0(VALU_DEP_1) | instskip(SKIP_1) | instid1(VALU_DEP_3)
	v_add_co_ci_u32_e64 v35, null, s13, 0, s2
	v_or_b32_e32 v21, 0x3000, v158
	v_add_co_u32 v29, s2, 0x1000, v34
	s_delay_alu instid0(VALU_DEP_1) | instskip(SKIP_1) | instid1(VALU_DEP_1)
	v_add_co_ci_u32_e64 v30, s2, 0, v35, s2
	v_add_co_u32 v37, s2, 0x2000, v34
	v_add_co_ci_u32_e64 v38, s2, 0, v35, s2
	v_add_co_u32 v45, s2, 0x3000, v34
	s_delay_alu instid0(VALU_DEP_1) | instskip(SKIP_4) | instid1(VALU_DEP_1)
	v_add_co_ci_u32_e64 v46, s2, 0, v35, s2
	v_add_co_u32 v61, s2, 0x4000, v34
	s_load_b128 s[4:7], s[4:5], 0x0
	v_add_co_ci_u32_e64 v62, s2, 0, v35, s2
	v_add_co_u32 v121, s2, 0x5000, v34
	v_add_co_ci_u32_e64 v122, s2, 0, v35, s2
	s_clause 0x2
	global_load_b128 v[1:4], v158, s[12:13]
	global_load_b128 v[5:8], v158, s[12:13] offset:1536
	global_load_b128 v[9:12], v158, s[12:13] offset:3072
	s_waitcnt lgkmcnt(0)
	v_mad_u64_u32 v[25:26], null, s6, v157, 0
	v_mad_u64_u32 v[27:28], null, s4, v0, 0
	s_mul_i32 s6, s5, 0x600
	s_mul_i32 s14, s4, 0x600
	v_mad_u64_u32 v[49:50], null, s4, v160, 0
	v_mad_u64_u32 v[51:52], null, s4, v159, 0
	s_delay_alu instid0(VALU_DEP_3) | instskip(NEXT) | instid1(VALU_DEP_4)
	v_mad_u64_u32 v[31:32], null, s7, v157, v[26:27]
	v_mad_u64_u32 v[32:33], null, s5, v0, v[28:29]
	v_lshlrev_b32_e32 v13, 4, v160
	v_lshlrev_b32_e32 v17, 4, v159
	s_mul_hi_u32 s7, s4, 0x600
	s_delay_alu instid0(VALU_DEP_4) | instskip(SKIP_1) | instid1(VALU_DEP_4)
	v_dual_mov_b32 v33, v52 :: v_dual_mov_b32 v26, v31
	s_add_i32 s7, s7, s6
	v_mov_b32_e32 v28, v32
	s_clause 0x1
	global_load_b128 v[13:16], v13, s[12:13]
	global_load_b128 v[17:20], v17, s[12:13]
	v_mad_u64_u32 v[55:56], null, s5, v159, v[33:34]
	v_lshlrev_b64 v[25:26], 4, v[25:26]
	v_lshlrev_b64 v[27:28], 4, v[27:28]
	global_load_b128 v[21:24], v21, s[12:13]
	v_mov_b32_e32 v52, v55
	v_add_co_u32 v57, s2, s10, v25
	s_delay_alu instid0(VALU_DEP_1) | instskip(SKIP_1) | instid1(VALU_DEP_3)
	v_add_co_ci_u32_e64 v58, s2, s11, v26, s2
	v_mov_b32_e32 v25, v50
	v_add_co_u32 v53, s2, v57, v27
	s_delay_alu instid0(VALU_DEP_1) | instskip(NEXT) | instid1(VALU_DEP_3)
	v_add_co_ci_u32_e64 v54, s2, v58, v28, s2
	v_mad_u64_u32 v[41:42], null, s5, v160, v[25:26]
	s_delay_alu instid0(VALU_DEP_3) | instskip(NEXT) | instid1(VALU_DEP_1)
	v_add_co_u32 v69, s2, v53, s14
	v_add_co_ci_u32_e64 v70, s2, s7, v54, s2
	s_mulk_i32 s5, 0xc00
	s_delay_alu instid0(VALU_DEP_2) | instskip(NEXT) | instid1(VALU_DEP_4)
	v_add_co_u32 v73, s2, v69, s14
	v_mov_b32_e32 v50, v41
	s_delay_alu instid0(VALU_DEP_3) | instskip(NEXT) | instid1(VALU_DEP_3)
	v_add_co_ci_u32_e64 v74, s2, s7, v70, s2
	v_add_co_u32 v77, s2, v73, s14
	s_delay_alu instid0(VALU_DEP_3) | instskip(NEXT) | instid1(VALU_DEP_3)
	v_lshlrev_b64 v[49:50], 4, v[49:50]
	v_add_co_ci_u32_e64 v78, s2, s7, v74, s2
	v_lshlrev_b64 v[51:52], 4, v[51:52]
	s_clause 0x3
	global_load_b128 v[25:28], v[29:30], off offset:512
	global_load_b128 v[29:32], v[29:30], off offset:3584
	;; [unrolled: 1-line block ×4, first 2 shown]
	v_mad_u64_u32 v[81:82], null, 0xc00, s4, v[77:78]
	s_clause 0x1
	global_load_b128 v[41:44], v[45:46], off offset:1536
	global_load_b128 v[45:48], v[45:46], off offset:3072
	v_add_nc_u32_e32 v82, s5, v82
	v_add_co_u32 v85, s2, v81, s14
	s_delay_alu instid0(VALU_DEP_1) | instskip(NEXT) | instid1(VALU_DEP_2)
	v_add_co_ci_u32_e64 v86, s2, s7, v82, s2
	v_add_co_u32 v89, s2, v85, s14
	s_delay_alu instid0(VALU_DEP_1) | instskip(SKIP_1) | instid1(VALU_DEP_1)
	v_add_co_ci_u32_e64 v90, s2, s7, v86, s2
	v_add_co_u32 v55, s2, v57, v49
	v_add_co_ci_u32_e64 v56, s2, v58, v50, s2
	s_delay_alu instid0(VALU_DEP_4) | instskip(NEXT) | instid1(VALU_DEP_1)
	v_add_co_u32 v93, s2, v89, s14
	v_add_co_ci_u32_e64 v94, s2, s7, v90, s2
	v_add_co_u32 v65, s2, v57, v51
	s_delay_alu instid0(VALU_DEP_1) | instskip(NEXT) | instid1(VALU_DEP_4)
	v_add_co_ci_u32_e64 v66, s2, v58, v52, s2
	v_add_co_u32 v97, s2, v93, s14
	s_delay_alu instid0(VALU_DEP_1) | instskip(SKIP_2) | instid1(VALU_DEP_1)
	v_add_co_ci_u32_e64 v98, s2, s7, v94, s2
	global_load_b128 v[49:52], v[53:54], off
	v_add_co_u32 v101, s2, v97, s14
	v_add_co_ci_u32_e64 v102, s2, s7, v98, s2
	global_load_b128 v[53:56], v[55:56], off
	v_add_co_u32 v105, s2, v101, s14
	s_delay_alu instid0(VALU_DEP_1)
	v_add_co_ci_u32_e64 v106, s2, s7, v102, s2
	s_clause 0x1
	global_load_b128 v[57:60], v[61:62], off offset:512
	global_load_b128 v[61:64], v[61:62], off offset:3584
	s_clause 0x4
	global_load_b128 v[65:68], v[65:66], off
	global_load_b128 v[69:72], v[69:70], off
	global_load_b128 v[73:76], v[73:74], off
	global_load_b128 v[77:80], v[77:78], off
	global_load_b128 v[81:84], v[81:82], off
	global_load_b128 v[85:88], v[85:86], off
	global_load_b128 v[89:92], v[89:90], off
	global_load_b128 v[93:96], v[93:94], off
	global_load_b128 v[97:100], v[97:98], off
	global_load_b128 v[101:104], v[101:102], off
	v_mad_u64_u32 v[109:110], null, 0xc00, s4, v[105:106]
	global_load_b128 v[105:108], v[105:106], off
	v_add_nc_u32_e32 v110, s5, v110
	v_add_co_u32 v113, s2, v109, s14
	s_delay_alu instid0(VALU_DEP_1) | instskip(NEXT) | instid1(VALU_DEP_2)
	v_add_co_ci_u32_e64 v114, s2, s7, v110, s2
	v_add_co_u32 v125, s2, v113, s14
	s_delay_alu instid0(VALU_DEP_1)
	v_add_co_ci_u32_e64 v126, s2, s7, v114, s2
	global_load_b128 v[109:112], v[109:110], off
	global_load_b128 v[113:116], v[113:114], off
	s_clause 0x1
	global_load_b128 v[117:120], v[121:122], off offset:1024
	global_load_b128 v[121:124], v[121:122], off offset:2560
	global_load_b128 v[125:128], v[125:126], off
	s_waitcnt vmcnt(19)
	v_mul_f64 v[129:130], v[51:52], v[3:4]
	v_mul_f64 v[3:4], v[49:50], v[3:4]
	s_waitcnt vmcnt(18)
	v_mul_f64 v[131:132], v[55:56], v[15:16]
	v_mul_f64 v[15:16], v[53:54], v[15:16]
	s_waitcnt vmcnt(13)
	v_mul_f64 v[137:138], v[75:76], v[11:12]
	v_mul_f64 v[139:140], v[73:74], v[11:12]
	v_mul_f64 v[133:134], v[67:68], v[19:20]
	v_mul_f64 v[19:20], v[65:66], v[19:20]
	;; [unrolled: 1-line block ×4, first 2 shown]
	s_waitcnt vmcnt(12)
	v_mul_f64 v[141:142], v[79:80], v[27:28]
	v_mul_f64 v[27:28], v[77:78], v[27:28]
	s_waitcnt vmcnt(11)
	v_mul_f64 v[143:144], v[83:84], v[31:32]
	v_mul_f64 v[31:32], v[81:82], v[31:32]
	s_waitcnt vmcnt(10)
	v_mul_f64 v[145:146], v[87:88], v[35:36]
	v_mul_f64 v[35:36], v[85:86], v[35:36]
	s_waitcnt vmcnt(9)
	v_mul_f64 v[147:148], v[91:92], v[39:40]
	v_mul_f64 v[39:40], v[89:90], v[39:40]
	s_waitcnt vmcnt(8)
	v_mul_f64 v[149:150], v[95:96], v[23:24]
	v_mul_f64 v[151:152], v[93:94], v[23:24]
	s_waitcnt vmcnt(7)
	v_mul_f64 v[153:154], v[99:100], v[43:44]
	v_mul_f64 v[43:44], v[97:98], v[43:44]
	s_waitcnt vmcnt(6)
	v_mul_f64 v[155:156], v[103:104], v[47:48]
	v_mul_f64 v[161:162], v[101:102], v[47:48]
	s_waitcnt vmcnt(5)
	v_mul_f64 v[163:164], v[107:108], v[59:60]
	v_mul_f64 v[59:60], v[105:106], v[59:60]
	s_waitcnt vmcnt(4)
	v_mul_f64 v[165:166], v[111:112], v[63:64]
	v_mul_f64 v[63:64], v[109:110], v[63:64]
	s_waitcnt vmcnt(2)
	v_mul_f64 v[167:168], v[115:116], v[119:120]
	v_mul_f64 v[119:120], v[113:114], v[119:120]
	s_waitcnt vmcnt(0)
	v_mul_f64 v[169:170], v[127:128], v[123:124]
	v_mul_f64 v[123:124], v[125:126], v[123:124]
	v_fma_f64 v[47:48], v[49:50], v[1:2], v[129:130]
	v_fma_f64 v[49:50], v[51:52], v[1:2], -v[3:4]
	v_fma_f64 v[1:2], v[53:54], v[13:14], v[131:132]
	v_fma_f64 v[3:4], v[55:56], v[13:14], -v[15:16]
	;; [unrolled: 2-line block ×16, first 2 shown]
	ds_store_b128 v158, v[47:50]
	ds_store_b128 v158, v[15:18] offset:1536
	ds_store_b128 v158, v[5:8] offset:3072
	;; [unrolled: 1-line block ×15, first 2 shown]
.LBB0_3:
	s_or_b32 exec_lo, exec_lo, s3
	s_waitcnt lgkmcnt(0)
	s_barrier
	buffer_gl0_inv
                                        ; implicit-def: $vgpr1_vgpr2
                                        ; implicit-def: $vgpr17_vgpr18
                                        ; implicit-def: $vgpr33_vgpr34
                                        ; implicit-def: $vgpr57_vgpr58
                                        ; implicit-def: $vgpr61_vgpr62
                                        ; implicit-def: $vgpr49_vgpr50
                                        ; implicit-def: $vgpr53_vgpr54
                                        ; implicit-def: $vgpr41_vgpr42
                                        ; implicit-def: $vgpr45_vgpr46
                                        ; implicit-def: $vgpr37_vgpr38
                                        ; implicit-def: $vgpr29_vgpr30
                                        ; implicit-def: $vgpr25_vgpr26
                                        ; implicit-def: $vgpr21_vgpr22
                                        ; implicit-def: $vgpr13_vgpr14
                                        ; implicit-def: $vgpr9_vgpr10
                                        ; implicit-def: $vgpr5_vgpr6
	s_and_saveexec_b32 s2, vcc_lo
	s_cbranch_execz .LBB0_5
; %bb.4:
	ds_load_b128 v[1:4], v158
	ds_load_b128 v[5:8], v158 offset:1536
	ds_load_b128 v[9:12], v158 offset:3072
	;; [unrolled: 1-line block ×15, first 2 shown]
.LBB0_5:
	s_or_b32 exec_lo, exec_lo, s2
	s_waitcnt lgkmcnt(7)
	v_add_f64 v[37:38], v[1:2], -v[37:38]
	v_add_f64 v[39:40], v[3:4], -v[39:40]
	s_waitcnt lgkmcnt(3)
	v_add_f64 v[53:54], v[21:22], -v[53:54]
	v_add_f64 v[55:56], v[23:24], -v[55:56]
	;; [unrolled: 1-line block ×4, first 2 shown]
	s_waitcnt lgkmcnt(1)
	v_add_f64 v[61:62], v[17:18], -v[61:62]
	v_add_f64 v[63:64], v[19:20], -v[63:64]
	;; [unrolled: 1-line block ×8, first 2 shown]
	s_waitcnt lgkmcnt(0)
	v_add_f64 v[59:60], v[31:32], -v[59:60]
	v_add_f64 v[57:58], v[29:30], -v[57:58]
	s_mov_b32 s2, 0x667f3bcd
	s_mov_b32 s3, 0xbfe6a09e
	;; [unrolled: 1-line block ×12, first 2 shown]
	v_lshlrev_b32_e32 v162, 8, v0
	s_barrier
	buffer_gl0_inv
	v_fma_f64 v[1:2], v[1:2], 2.0, -v[37:38]
	v_fma_f64 v[3:4], v[3:4], 2.0, -v[39:40]
	v_add_f64 v[67:68], v[39:40], v[53:54]
	v_add_f64 v[65:66], v[37:38], -v[55:56]
	v_fma_f64 v[21:22], v[21:22], 2.0, -v[53:54]
	v_fma_f64 v[23:24], v[23:24], 2.0, -v[55:56]
	v_add_f64 v[71:72], v[61:62], v[47:48]
	v_add_f64 v[69:70], v[45:46], -v[63:64]
	;; [unrolled: 4-line block ×3, first 2 shown]
	v_fma_f64 v[17:18], v[17:18], 2.0, -v[61:62]
	v_fma_f64 v[19:20], v[19:20], 2.0, -v[63:64]
	v_add_f64 v[77:78], v[41:42], -v[59:60]
	v_add_f64 v[79:80], v[57:58], v[43:44]
	v_fma_f64 v[5:6], v[5:6], 2.0, -v[33:34]
	v_fma_f64 v[7:8], v[7:8], 2.0, -v[35:36]
	;; [unrolled: 1-line block ×10, first 2 shown]
	v_add_f64 v[21:22], v[1:2], -v[21:22]
	v_add_f64 v[23:24], v[3:4], -v[23:24]
	v_fma_f64 v[47:48], v[47:48], 2.0, -v[71:72]
	v_fma_f64 v[45:46], v[45:46], 2.0, -v[69:70]
	v_fma_f64 v[49:50], v[69:70], s[4:5], v[65:66]
	v_fma_f64 v[51:52], v[71:72], s[4:5], v[67:68]
	v_fma_f64 v[35:36], v[35:36], 2.0, -v[75:76]
	v_fma_f64 v[33:34], v[33:34], 2.0, -v[73:74]
	v_add_f64 v[17:18], v[9:10], -v[17:18]
	v_add_f64 v[19:20], v[11:12], -v[19:20]
	v_fma_f64 v[41:42], v[41:42], 2.0, -v[77:78]
	v_fma_f64 v[43:44], v[43:44], 2.0, -v[79:80]
	v_fma_f64 v[53:54], v[77:78], s[4:5], v[73:74]
	v_fma_f64 v[55:56], v[79:80], s[4:5], v[75:76]
	v_add_f64 v[25:26], v[5:6], -v[25:26]
	v_add_f64 v[27:28], v[7:8], -v[27:28]
	;; [unrolled: 1-line block ×4, first 2 shown]
	v_fma_f64 v[1:2], v[1:2], 2.0, -v[21:22]
	v_fma_f64 v[3:4], v[3:4], 2.0, -v[23:24]
	v_fma_f64 v[59:60], v[47:48], s[2:3], v[39:40]
	v_fma_f64 v[57:58], v[45:46], s[2:3], v[37:38]
	;; [unrolled: 1-line block ×4, first 2 shown]
	v_fma_f64 v[9:10], v[9:10], 2.0, -v[17:18]
	v_fma_f64 v[11:12], v[11:12], 2.0, -v[19:20]
	v_fma_f64 v[61:62], v[41:42], s[2:3], v[33:34]
	v_fma_f64 v[63:64], v[43:44], s[2:3], v[35:36]
	v_add_f64 v[19:20], v[21:22], -v[19:20]
	v_add_f64 v[17:18], v[23:24], v[17:18]
	v_fma_f64 v[5:6], v[5:6], 2.0, -v[25:26]
	v_fma_f64 v[7:8], v[7:8], 2.0, -v[27:28]
	v_fma_f64 v[53:54], v[79:80], s[2:3], v[53:54]
	v_fma_f64 v[55:56], v[77:78], s[4:5], v[55:56]
	v_fma_f64 v[13:14], v[13:14], 2.0, -v[29:30]
	v_fma_f64 v[15:16], v[15:16], 2.0, -v[31:32]
	v_add_f64 v[31:32], v[25:26], -v[31:32]
	v_add_f64 v[29:30], v[29:30], v[27:28]
	v_fma_f64 v[45:46], v[45:46], s[4:5], v[59:60]
	v_fma_f64 v[47:48], v[47:48], s[2:3], v[57:58]
	v_fma_f64 v[57:58], v[65:66], 2.0, -v[49:50]
	v_fma_f64 v[59:60], v[67:68], 2.0, -v[51:52]
	v_add_f64 v[9:10], v[1:2], -v[9:10]
	v_add_f64 v[11:12], v[3:4], -v[11:12]
	v_fma_f64 v[43:44], v[43:44], s[2:3], v[61:62]
	v_fma_f64 v[41:42], v[41:42], s[4:5], v[63:64]
	v_fma_f64 v[21:22], v[21:22], 2.0, -v[19:20]
	v_fma_f64 v[23:24], v[23:24], 2.0, -v[17:18]
	;; [unrolled: 1-line block ×4, first 2 shown]
	v_add_f64 v[13:14], v[5:6], -v[13:14]
	v_add_f64 v[15:16], v[7:8], -v[15:16]
	v_fma_f64 v[25:26], v[25:26], 2.0, -v[31:32]
	v_fma_f64 v[27:28], v[27:28], 2.0, -v[29:30]
	v_fma_f64 v[65:66], v[31:32], s[4:5], v[19:20]
	v_fma_f64 v[67:68], v[29:30], s[4:5], v[17:18]
	;; [unrolled: 1-line block ×4, first 2 shown]
	v_fma_f64 v[39:40], v[39:40], 2.0, -v[45:46]
	v_fma_f64 v[37:38], v[37:38], 2.0, -v[47:48]
	;; [unrolled: 1-line block ×6, first 2 shown]
	v_fma_f64 v[79:80], v[43:44], s[14:15], v[47:48]
	v_fma_f64 v[81:82], v[41:42], s[14:15], v[45:46]
	;; [unrolled: 1-line block ×4, first 2 shown]
	v_fma_f64 v[5:6], v[5:6], 2.0, -v[13:14]
	v_fma_f64 v[7:8], v[7:8], 2.0, -v[15:16]
	v_fma_f64 v[71:72], v[25:26], s[2:3], v[21:22]
	v_fma_f64 v[73:74], v[27:28], s[2:3], v[23:24]
	v_add_f64 v[109:110], v[9:10], -v[15:16]
	v_add_f64 v[111:112], v[11:12], v[13:14]
	v_fma_f64 v[117:118], v[29:30], s[2:3], v[65:66]
	v_fma_f64 v[119:120], v[31:32], s[4:5], v[67:68]
	;; [unrolled: 1-line block ×10, first 2 shown]
	v_add_f64 v[93:94], v[1:2], -v[5:6]
	v_add_f64 v[95:96], v[3:4], -v[7:8]
	v_fma_f64 v[101:102], v[27:28], s[2:3], v[71:72]
	v_fma_f64 v[103:104], v[25:26], s[4:5], v[73:74]
	v_fma_f64 v[73:74], v[9:10], 2.0, -v[109:110]
	v_fma_f64 v[75:76], v[11:12], 2.0, -v[111:112]
	;; [unrolled: 1-line block ×4, first 2 shown]
	v_fma_f64 v[97:98], v[35:36], s[10:11], v[83:84]
	v_fma_f64 v[99:100], v[33:34], s[14:15], v[85:86]
	v_fma_f64 v[85:86], v[19:20], 2.0, -v[117:118]
	v_fma_f64 v[89:90], v[47:48], 2.0, -v[113:114]
	;; [unrolled: 1-line block ×12, first 2 shown]
	s_and_saveexec_b32 s2, vcc_lo
	s_cbranch_execz .LBB0_7
; %bb.6:
	ds_store_b128 v162, v[61:64]
	ds_store_b128 v162, v[65:68] offset:16
	ds_store_b128 v162, v[69:72] offset:32
	;; [unrolled: 1-line block ×15, first 2 shown]
.LBB0_7:
	s_or_b32 exec_lo, exec_lo, s2
	s_clause 0x1
	s_load_b64 s[2:3], s[0:1], 0x20
	s_load_b64 s[0:1], s[0:1], 0x8
	s_waitcnt lgkmcnt(0)
	s_barrier
	buffer_gl0_inv
	s_and_saveexec_b32 s4, vcc_lo
	s_cbranch_execz .LBB0_9
; %bb.8:
	ds_load_b128 v[61:64], v158
	ds_load_b128 v[65:68], v158 offset:1536
	ds_load_b128 v[69:72], v158 offset:3072
	;; [unrolled: 1-line block ×15, first 2 shown]
.LBB0_9:
	s_or_b32 exec_lo, exec_lo, s4
	v_and_b32_e32 v161, 15, v0
	s_mov_b32 s4, 0x667f3bcd
	s_mov_b32 s5, 0xbfe6a09e
	;; [unrolled: 1-line block ×4, first 2 shown]
	v_mad_u64_u32 v[53:54], null, 0xf0, v161, s[0:1]
	s_mov_b32 s10, 0xcf328d46
	s_mov_b32 s11, 0xbfed906b
	;; [unrolled: 1-line block ×6, first 2 shown]
	s_clause 0xe
	global_load_b128 v[1:4], v[53:54], off
	global_load_b128 v[13:16], v[53:54], off offset:16
	global_load_b128 v[9:12], v[53:54], off offset:32
	;; [unrolled: 1-line block ×14, first 2 shown]
	s_mov_b32 s19, 0x3fd87de2
	s_mov_b32 s18, s16
	s_waitcnt vmcnt(0) lgkmcnt(0)
	s_barrier
	buffer_gl0_inv
	v_mul_f64 v[125:126], v[67:68], v[3:4]
	v_mul_f64 v[127:128], v[65:66], v[3:4]
	;; [unrolled: 1-line block ×30, first 2 shown]
	v_fma_f64 v[65:66], v[65:66], v[1:2], -v[125:126]
	v_fma_f64 v[67:68], v[67:68], v[1:2], v[127:128]
	v_fma_f64 v[69:70], v[69:70], v[13:14], -v[129:130]
	v_fma_f64 v[71:72], v[71:72], v[13:14], v[131:132]
	;; [unrolled: 2-line block ×11, first 2 shown]
	v_fma_f64 v[115:116], v[115:116], v[41:42], v[175:176]
	v_fma_f64 v[105:106], v[105:106], v[45:46], -v[177:178]
	v_fma_f64 v[81:82], v[81:82], v[49:50], -v[179:180]
	;; [unrolled: 1-line block ×3, first 2 shown]
	v_fma_f64 v[83:84], v[83:84], v[49:50], v[183:184]
	v_fma_f64 v[123:124], v[123:124], v[53:54], v[185:186]
	v_fma_f64 v[113:114], v[113:114], v[41:42], -v[187:188]
	v_fma_f64 v[107:108], v[107:108], v[45:46], v[189:190]
	v_add_f64 v[93:94], v[61:62], -v[93:94]
	v_add_f64 v[95:96], v[63:64], -v[95:96]
	;; [unrolled: 1-line block ×16, first 2 shown]
	v_fma_f64 v[61:62], v[61:62], 2.0, -v[93:94]
	v_fma_f64 v[63:64], v[63:64], 2.0, -v[95:96]
	;; [unrolled: 1-line block ×4, first 2 shown]
	v_add_f64 v[127:128], v[95:96], v[109:110]
	v_add_f64 v[125:126], v[93:94], -v[111:112]
	v_fma_f64 v[73:74], v[73:74], 2.0, -v[109:110]
	v_fma_f64 v[75:76], v[75:76], 2.0, -v[111:112]
	v_add_f64 v[131:132], v[103:104], v[117:118]
	v_add_f64 v[129:130], v[101:102], -v[119:120]
	v_add_f64 v[133:134], v[97:98], -v[115:116]
	v_fma_f64 v[69:70], v[69:70], 2.0, -v[101:102]
	v_fma_f64 v[71:72], v[71:72], 2.0, -v[103:104]
	;; [unrolled: 1-line block ×4, first 2 shown]
	v_add_f64 v[135:136], v[105:106], -v[123:124]
	v_add_f64 v[137:138], v[99:100], v[113:114]
	v_add_f64 v[139:140], v[107:108], v[121:122]
	v_fma_f64 v[77:78], v[77:78], 2.0, -v[105:106]
	v_fma_f64 v[81:82], v[81:82], 2.0, -v[121:122]
	;; [unrolled: 1-line block ×8, first 2 shown]
	v_add_f64 v[73:74], v[61:62], -v[73:74]
	v_add_f64 v[75:76], v[63:64], -v[75:76]
	v_fma_f64 v[103:104], v[103:104], 2.0, -v[131:132]
	v_fma_f64 v[101:102], v[101:102], 2.0, -v[129:130]
	;; [unrolled: 1-line block ×3, first 2 shown]
	v_fma_f64 v[109:110], v[129:130], s[6:7], v[125:126]
	v_fma_f64 v[111:112], v[131:132], s[6:7], v[127:128]
	v_add_f64 v[85:86], v[69:70], -v[85:86]
	v_add_f64 v[87:88], v[71:72], -v[87:88]
	v_fma_f64 v[105:106], v[105:106], 2.0, -v[135:136]
	v_fma_f64 v[99:100], v[99:100], 2.0, -v[137:138]
	;; [unrolled: 1-line block ×3, first 2 shown]
	v_fma_f64 v[113:114], v[135:136], s[6:7], v[133:134]
	v_add_f64 v[81:82], v[77:78], -v[81:82]
	v_add_f64 v[89:90], v[65:66], -v[89:90]
	v_fma_f64 v[115:116], v[139:140], s[6:7], v[137:138]
	v_add_f64 v[83:84], v[79:80], -v[83:84]
	v_add_f64 v[91:92], v[67:68], -v[91:92]
	v_fma_f64 v[147:148], v[61:62], 2.0, -v[73:74]
	v_fma_f64 v[149:150], v[63:64], 2.0, -v[75:76]
	v_fma_f64 v[119:120], v[103:104], s[4:5], v[95:96]
	v_fma_f64 v[117:118], v[101:102], s[4:5], v[93:94]
	;; [unrolled: 1-line block ×4, first 2 shown]
	v_fma_f64 v[141:142], v[69:70], 2.0, -v[85:86]
	v_fma_f64 v[143:144], v[71:72], 2.0, -v[87:88]
	v_fma_f64 v[121:122], v[105:106], s[4:5], v[97:98]
	v_add_f64 v[87:88], v[73:74], -v[87:88]
	v_fma_f64 v[123:124], v[107:108], s[4:5], v[99:100]
	v_add_f64 v[85:86], v[75:76], v[85:86]
	v_fma_f64 v[145:146], v[77:78], 2.0, -v[81:82]
	v_fma_f64 v[111:112], v[65:66], 2.0, -v[89:90]
	v_add_f64 v[109:110], v[89:90], -v[83:84]
	v_add_f64 v[81:82], v[91:92], v[81:82]
	v_fma_f64 v[151:152], v[67:68], 2.0, -v[91:92]
	v_fma_f64 v[79:80], v[79:80], 2.0, -v[83:84]
	v_fma_f64 v[83:84], v[139:140], s[4:5], v[113:114]
	v_fma_f64 v[113:114], v[135:136], s[6:7], v[115:116]
	;; [unrolled: 1-line block ×4, first 2 shown]
	v_fma_f64 v[67:68], v[125:126], 2.0, -v[131:132]
	v_fma_f64 v[77:78], v[127:128], 2.0, -v[129:130]
	v_add_f64 v[65:66], v[147:148], -v[141:142]
	v_fma_f64 v[115:116], v[107:108], s[4:5], v[121:122]
	v_fma_f64 v[63:64], v[73:74], 2.0, -v[87:88]
	v_fma_f64 v[135:136], v[105:106], s[6:7], v[123:124]
	v_fma_f64 v[71:72], v[75:76], 2.0, -v[85:86]
	v_add_f64 v[123:124], v[149:150], -v[143:144]
	v_add_f64 v[101:102], v[111:112], -v[145:146]
	v_fma_f64 v[89:90], v[89:90], 2.0, -v[109:110]
	v_fma_f64 v[91:92], v[91:92], 2.0, -v[81:82]
	v_fma_f64 v[105:106], v[109:110], s[6:7], v[87:88]
	v_add_f64 v[103:104], v[151:152], -v[79:80]
	v_fma_f64 v[125:126], v[133:134], 2.0, -v[83:84]
	v_fma_f64 v[127:128], v[137:138], 2.0, -v[113:114]
	v_fma_f64 v[107:108], v[81:82], s[6:7], v[85:86]
	v_fma_f64 v[133:134], v[83:84], s[14:15], v[131:132]
	v_fma_f64 v[79:80], v[95:96], 2.0, -v[69:70]
	v_fma_f64 v[73:74], v[93:94], 2.0, -v[61:62]
	;; [unrolled: 1-line block ×4, first 2 shown]
	v_fma_f64 v[97:98], v[113:114], s[14:15], v[129:130]
	v_fma_f64 v[93:94], v[99:100], 2.0, -v[135:136]
	v_fma_f64 v[147:148], v[115:116], s[18:19], v[61:62]
	v_fma_f64 v[121:122], v[149:150], 2.0, -v[123:124]
	v_fma_f64 v[139:140], v[111:112], 2.0, -v[101:102]
	v_fma_f64 v[149:150], v[135:136], s[18:19], v[69:70]
	v_fma_f64 v[99:100], v[89:90], s[4:5], v[63:64]
	;; [unrolled: 1-line block ×4, first 2 shown]
	v_fma_f64 v[141:142], v[151:152], 2.0, -v[103:104]
	v_fma_f64 v[143:144], v[125:126], s[16:17], v[67:68]
	v_fma_f64 v[145:146], v[127:128], s[16:17], v[77:78]
	;; [unrolled: 1-line block ×4, first 2 shown]
	v_add_f64 v[105:106], v[65:66], -v[103:104]
	v_add_f64 v[107:108], v[123:124], v[101:102]
	v_fma_f64 v[133:134], v[95:96], s[10:11], v[73:74]
	v_fma_f64 v[111:112], v[83:84], s[18:19], v[97:98]
	;; [unrolled: 1-line block ×7, first 2 shown]
	v_add_f64 v[89:90], v[75:76], -v[139:140]
	v_add_f64 v[91:92], v[121:122], -v[141:142]
	v_fma_f64 v[97:98], v[127:128], s[10:11], v[143:144]
	v_fma_f64 v[99:100], v[125:126], s[14:15], v[145:146]
	v_fma_f64 v[81:82], v[87:88], 2.0, -v[117:118]
	v_fma_f64 v[83:84], v[85:86], 2.0, -v[119:120]
	;; [unrolled: 1-line block ×3, first 2 shown]
	v_fma_f64 v[93:94], v[93:94], s[16:17], v[133:134]
	v_fma_f64 v[87:88], v[129:130], 2.0, -v[111:112]
	v_fma_f64 v[95:96], v[95:96], s[18:19], v[151:152]
	s_and_saveexec_b32 s4, vcc_lo
	s_cbranch_execz .LBB0_11
; %bb.10:
	v_fma_f64 v[135:136], v[121:122], 2.0, -v[91:92]
	v_fma_f64 v[133:134], v[75:76], 2.0, -v[89:90]
	s_delay_alu instid0(VALU_DEP_3)
	v_fma_f64 v[131:132], v[79:80], 2.0, -v[95:96]
	v_fma_f64 v[129:130], v[73:74], 2.0, -v[93:94]
	;; [unrolled: 1-line block ×10, first 2 shown]
	v_and_or_b32 v61, 0x700, v158, v161
	s_delay_alu instid0(VALU_DEP_1)
	v_lshlrev_b32_e32 v61, 4, v61
	ds_store_b128 v61, v[81:84] offset:1536
	ds_store_b128 v61, v[85:88] offset:1792
	;; [unrolled: 1-line block ×8, first 2 shown]
	ds_store_b128 v61, v[133:136]
	ds_store_b128 v61, v[129:132] offset:256
	ds_store_b128 v61, v[125:128] offset:512
	;; [unrolled: 1-line block ×7, first 2 shown]
.LBB0_11:
	s_or_b32 exec_lo, exec_lo, s4
	v_mad_u64_u32 v[69:70], null, 0x50, v0, s[0:1]
	s_load_b128 s[4:7], s[2:3], 0x0
	s_waitcnt lgkmcnt(0)
	s_barrier
	buffer_gl0_inv
	s_mov_b32 s0, 0xe8584caa
	s_mov_b32 s1, 0x3febb67a
	s_clause 0x4
	global_load_b128 v[61:64], v[69:70], off offset:3872
	global_load_b128 v[77:80], v[69:70], off offset:3904
	;; [unrolled: 1-line block ×5, first 2 shown]
	ds_load_b128 v[121:124], v158 offset:12288
	ds_load_b128 v[125:128], v158 offset:20480
	;; [unrolled: 1-line block ×3, first 2 shown]
	s_mov_b32 s3, 0xbfebb67a
	s_mov_b32 s2, s0
	s_waitcnt vmcnt(4) lgkmcnt(2)
	v_mul_f64 v[133:134], v[123:124], v[63:64]
	v_mul_f64 v[135:136], v[121:122], v[63:64]
	s_waitcnt vmcnt(3) lgkmcnt(1)
	v_mul_f64 v[137:138], v[125:126], v[79:80]
	v_mul_f64 v[139:140], v[127:128], v[79:80]
	;; [unrolled: 3-line block ×3, first 2 shown]
	v_fma_f64 v[133:134], v[121:122], v[61:62], -v[133:134]
	v_fma_f64 v[135:136], v[123:124], v[61:62], v[135:136]
	v_fma_f64 v[137:138], v[127:128], v[77:78], v[137:138]
	v_fma_f64 v[139:140], v[125:126], v[77:78], -v[139:140]
	ds_load_b128 v[121:124], v158 offset:8192
	ds_load_b128 v[125:128], v158 offset:16384
	v_fma_f64 v[129:130], v[129:130], v[65:66], -v[141:142]
	v_fma_f64 v[131:132], v[131:132], v[65:66], v[143:144]
	s_waitcnt vmcnt(1) lgkmcnt(1)
	v_mul_f64 v[145:146], v[123:124], v[75:76]
	v_mul_f64 v[147:148], v[121:122], v[75:76]
	s_waitcnt vmcnt(0) lgkmcnt(0)
	v_mul_f64 v[149:150], v[127:128], v[71:72]
	v_mul_f64 v[151:152], v[125:126], v[71:72]
	v_add_f64 v[141:142], v[135:136], v[137:138]
	v_add_f64 v[143:144], v[133:134], v[139:140]
	v_fma_f64 v[145:146], v[121:122], v[73:74], -v[145:146]
	v_fma_f64 v[147:148], v[123:124], v[73:74], v[147:148]
	v_fma_f64 v[125:126], v[125:126], v[69:70], -v[149:150]
	v_fma_f64 v[127:128], v[127:128], v[69:70], v[151:152]
	v_add_f64 v[121:122], v[135:136], -v[137:138]
	v_add_f64 v[123:124], v[133:134], -v[139:140]
	v_fma_f64 v[141:142], v[141:142], -0.5, v[131:132]
	v_fma_f64 v[143:144], v[143:144], -0.5, v[129:130]
	v_add_f64 v[129:130], v[129:130], v[133:134]
	v_add_f64 v[131:132], v[131:132], v[135:136]
	;; [unrolled: 1-line block ×4, first 2 shown]
	v_add_f64 v[165:166], v[147:148], -v[127:128]
	v_add_f64 v[133:134], v[145:146], -v[125:126]
	v_fma_f64 v[153:154], v[123:124], s[2:3], v[141:142]
	v_fma_f64 v[155:156], v[121:122], s[2:3], v[143:144]
	;; [unrolled: 1-line block ×4, first 2 shown]
	ds_load_b128 v[121:124], v158
	v_add_f64 v[129:130], v[129:130], v[139:140]
	v_add_f64 v[131:132], v[131:132], v[137:138]
	s_waitcnt lgkmcnt(0)
	v_add_f64 v[163:164], v[121:122], v[145:146]
	v_add_f64 v[147:148], v[123:124], v[147:148]
	v_fma_f64 v[121:122], v[149:150], -0.5, v[121:122]
	v_fma_f64 v[123:124], v[151:152], -0.5, v[123:124]
	v_mul_f64 v[135:136], v[153:154], s[0:1]
	v_mul_f64 v[145:146], v[155:156], -0.5
	v_mul_f64 v[149:150], v[143:144], s[2:3]
	v_mul_f64 v[151:152], v[141:142], -0.5
	v_add_f64 v[125:126], v[163:164], v[125:126]
	v_add_f64 v[127:128], v[147:148], v[127:128]
	v_fma_f64 v[137:138], v[165:166], s[0:1], v[121:122]
	v_fma_f64 v[139:140], v[165:166], s[2:3], v[121:122]
	;; [unrolled: 1-line block ×4, first 2 shown]
	v_fma_f64 v[143:144], v[143:144], 0.5, v[135:136]
	v_fma_f64 v[141:142], v[141:142], s[0:1], v[145:146]
	v_fma_f64 v[145:146], v[153:154], 0.5, v[149:150]
	v_fma_f64 v[149:150], v[155:156], s[2:3], v[151:152]
	v_add_f64 v[121:122], v[125:126], v[129:130]
	v_add_f64 v[123:124], v[127:128], v[131:132]
	v_add_f64 v[129:130], v[125:126], -v[129:130]
	v_add_f64 v[131:132], v[127:128], -v[131:132]
	v_add_f64 v[125:126], v[137:138], v[143:144]
	v_add_f64 v[133:134], v[139:140], v[141:142]
	;; [unrolled: 1-line block ×4, first 2 shown]
	v_add_f64 v[137:138], v[137:138], -v[143:144]
	v_add_f64 v[141:142], v[139:140], -v[141:142]
	v_add_f64 v[139:140], v[147:148], -v[145:146]
	v_add_f64 v[143:144], v[163:164], -v[149:150]
	v_or_b32_e32 v145, 0x300, v0
	ds_store_b128 v158, v[121:124]
	ds_store_b128 v158, v[125:128] offset:4096
	ds_store_b128 v158, v[133:136] offset:8192
	;; [unrolled: 1-line block ×5, first 2 shown]
	v_lshlrev_b32_e32 v163, 4, v145
	s_waitcnt lgkmcnt(0)
	s_barrier
	buffer_gl0_inv
	s_and_saveexec_b32 s1, vcc_lo
	s_cbranch_execz .LBB0_13
; %bb.12:
	s_add_u32 s2, s12, 0x6000
	s_addc_u32 s3, s13, 0
	v_or_b32_e32 v168, 0x1800, v158
	s_clause 0x3
	global_load_b128 v[145:148], v158, s[2:3]
	global_load_b128 v[149:152], v158, s[2:3] offset:1536
	global_load_b128 v[153:156], v158, s[2:3] offset:3072
	global_load_b128 v[164:167], v163, s[2:3]
	v_add_co_u32 v222, s0, s2, v158
	s_delay_alu instid0(VALU_DEP_1)
	v_add_co_ci_u32_e64 v223, null, s3, 0, s0
	global_load_b128 v[168:171], v168, s[2:3]
	ds_load_b128 v[172:175], v158
	ds_load_b128 v[176:179], v158 offset:1536
	ds_load_b128 v[180:183], v158 offset:3072
	v_add_co_u32 v208, s0, 0x2000, v222
	s_delay_alu instid0(VALU_DEP_1) | instskip(SKIP_1) | instid1(VALU_DEP_1)
	v_add_co_ci_u32_e64 v209, s0, 0, v223, s0
	v_add_co_u32 v212, s0, 0x4000, v222
	v_add_co_ci_u32_e64 v213, s0, 0, v223, s0
	s_waitcnt vmcnt(4) lgkmcnt(2)
	v_mul_f64 v[184:185], v[174:175], v[147:148]
	v_mul_f64 v[147:148], v[172:173], v[147:148]
	s_waitcnt vmcnt(3) lgkmcnt(1)
	v_mul_f64 v[186:187], v[178:179], v[151:152]
	v_mul_f64 v[151:152], v[176:177], v[151:152]
	s_delay_alu instid0(VALU_DEP_4) | instskip(NEXT) | instid1(VALU_DEP_4)
	v_fma_f64 v[172:173], v[172:173], v[145:146], -v[184:185]
	v_fma_f64 v[174:175], v[174:175], v[145:146], v[147:148]
	ds_load_b128 v[145:148], v158 offset:4608
	s_waitcnt vmcnt(2) lgkmcnt(1)
	v_mul_f64 v[188:189], v[182:183], v[155:156]
	v_mul_f64 v[155:156], v[180:181], v[155:156]
	v_fma_f64 v[176:177], v[176:177], v[149:150], -v[186:187]
	v_fma_f64 v[178:179], v[178:179], v[149:150], v[151:152]
	ds_load_b128 v[149:152], v158 offset:12288
	ds_load_b128 v[184:187], v158 offset:13824
	v_fma_f64 v[180:181], v[180:181], v[153:154], -v[188:189]
	s_waitcnt vmcnt(1) lgkmcnt(1)
	v_mul_f64 v[188:189], v[151:152], v[166:167]
	v_mul_f64 v[166:167], v[149:150], v[166:167]
	v_fma_f64 v[182:183], v[182:183], v[153:154], v[155:156]
	ds_load_b128 v[153:156], v158 offset:6144
	v_fma_f64 v[149:150], v[149:150], v[164:165], -v[188:189]
	v_fma_f64 v[151:152], v[151:152], v[164:165], v[166:167]
	ds_load_b128 v[164:167], v158 offset:7680
	s_waitcnt vmcnt(0) lgkmcnt(1)
	v_mul_f64 v[192:193], v[155:156], v[170:171]
	v_mul_f64 v[170:171], v[153:154], v[170:171]
	global_load_b128 v[188:191], v[208:209], off offset:1024
	v_fma_f64 v[153:154], v[153:154], v[168:169], -v[192:193]
	v_fma_f64 v[155:156], v[155:156], v[168:169], v[170:171]
	v_or_b32_e32 v168, 0x4800, v158
	global_load_b128 v[168:171], v168, s[2:3]
	ds_load_b128 v[192:195], v158 offset:18432
	ds_load_b128 v[196:199], v158 offset:19968
	global_load_b128 v[200:203], v[212:213], off offset:3584
	s_waitcnt vmcnt(1) lgkmcnt(1)
	v_mul_f64 v[204:205], v[194:195], v[170:171]
	v_mul_f64 v[170:171], v[192:193], v[170:171]
	s_delay_alu instid0(VALU_DEP_2) | instskip(SKIP_1) | instid1(VALU_DEP_1)
	v_fma_f64 v[192:193], v[192:193], v[168:169], -v[204:205]
	v_add_co_u32 v204, s0, 0x1000, v222
	v_add_co_ci_u32_e64 v205, s0, 0, v223, s0
	s_delay_alu instid0(VALU_DEP_4) | instskip(SKIP_4) | instid1(VALU_DEP_1)
	v_fma_f64 v[194:195], v[194:195], v[168:169], v[170:171]
	s_clause 0x1
	global_load_b128 v[168:171], v[204:205], off offset:512
	global_load_b128 v[204:207], v[204:205], off offset:3584
	v_add_co_u32 v214, s0, 0x3000, v222
	v_add_co_ci_u32_e64 v215, s0, 0, v223, s0
	s_waitcnt vmcnt(1)
	v_mul_f64 v[210:211], v[147:148], v[170:171]
	v_mul_f64 v[170:171], v[145:146], v[170:171]
	s_delay_alu instid0(VALU_DEP_2) | instskip(NEXT) | instid1(VALU_DEP_2)
	v_fma_f64 v[145:146], v[145:146], v[168:169], -v[210:211]
	v_fma_f64 v[147:148], v[147:148], v[168:169], v[170:171]
	s_waitcnt vmcnt(0)
	v_mul_f64 v[168:169], v[166:167], v[206:207]
	v_mul_f64 v[170:171], v[164:165], v[206:207]
	s_delay_alu instid0(VALU_DEP_2) | instskip(NEXT) | instid1(VALU_DEP_2)
	v_fma_f64 v[164:165], v[164:165], v[204:205], -v[168:169]
	v_fma_f64 v[166:167], v[166:167], v[204:205], v[170:171]
	ds_load_b128 v[168:171], v158 offset:9216
	ds_load_b128 v[204:207], v158 offset:10752
	s_waitcnt lgkmcnt(1)
	v_mul_f64 v[210:211], v[170:171], v[190:191]
	v_mul_f64 v[190:191], v[168:169], v[190:191]
	s_delay_alu instid0(VALU_DEP_2) | instskip(NEXT) | instid1(VALU_DEP_2)
	v_fma_f64 v[168:169], v[168:169], v[188:189], -v[210:211]
	v_fma_f64 v[170:171], v[170:171], v[188:189], v[190:191]
	s_clause 0x1
	global_load_b128 v[188:191], v[208:209], off offset:2560
	global_load_b128 v[208:211], v[214:215], off offset:1536
	s_waitcnt vmcnt(1) lgkmcnt(0)
	v_mul_f64 v[216:217], v[206:207], v[190:191]
	v_mul_f64 v[190:191], v[204:205], v[190:191]
	s_delay_alu instid0(VALU_DEP_2) | instskip(NEXT) | instid1(VALU_DEP_2)
	v_fma_f64 v[204:205], v[204:205], v[188:189], -v[216:217]
	v_fma_f64 v[206:207], v[206:207], v[188:189], v[190:191]
	s_waitcnt vmcnt(0)
	v_mul_f64 v[188:189], v[186:187], v[210:211]
	v_mul_f64 v[190:191], v[184:185], v[210:211]
	s_delay_alu instid0(VALU_DEP_2) | instskip(NEXT) | instid1(VALU_DEP_2)
	v_fma_f64 v[184:185], v[184:185], v[208:209], -v[188:189]
	v_fma_f64 v[186:187], v[186:187], v[208:209], v[190:191]
	s_clause 0x1
	global_load_b128 v[188:191], v[214:215], off offset:3072
	global_load_b128 v[208:211], v[212:213], off offset:512
	ds_load_b128 v[212:215], v158 offset:15360
	ds_load_b128 v[216:219], v158 offset:16896
	s_waitcnt vmcnt(1) lgkmcnt(1)
	v_mul_f64 v[220:221], v[214:215], v[190:191]
	v_mul_f64 v[190:191], v[212:213], v[190:191]
	s_delay_alu instid0(VALU_DEP_2) | instskip(NEXT) | instid1(VALU_DEP_2)
	v_fma_f64 v[212:213], v[212:213], v[188:189], -v[220:221]
	v_fma_f64 v[214:215], v[214:215], v[188:189], v[190:191]
	s_waitcnt vmcnt(0) lgkmcnt(0)
	v_mul_f64 v[188:189], v[218:219], v[210:211]
	v_mul_f64 v[190:191], v[216:217], v[210:211]
	s_delay_alu instid0(VALU_DEP_2) | instskip(NEXT) | instid1(VALU_DEP_2)
	v_fma_f64 v[188:189], v[216:217], v[208:209], -v[188:189]
	v_fma_f64 v[190:191], v[218:219], v[208:209], v[190:191]
	v_mul_f64 v[208:209], v[198:199], v[202:203]
	v_mul_f64 v[202:203], v[196:197], v[202:203]
	s_delay_alu instid0(VALU_DEP_2) | instskip(SKIP_1) | instid1(VALU_DEP_1)
	v_fma_f64 v[196:197], v[196:197], v[200:201], -v[208:209]
	v_add_co_u32 v208, s0, 0x5000, v222
	v_add_co_ci_u32_e64 v209, s0, 0, v223, s0
	s_delay_alu instid0(VALU_DEP_4)
	v_fma_f64 v[198:199], v[198:199], v[200:201], v[202:203]
	s_clause 0x1
	global_load_b128 v[200:203], v[208:209], off offset:1024
	global_load_b128 v[208:211], v[208:209], off offset:2560
	ds_load_b128 v[216:219], v158 offset:21504
	ds_load_b128 v[220:223], v158 offset:23040
	s_waitcnt vmcnt(1) lgkmcnt(1)
	v_mul_f64 v[224:225], v[218:219], v[202:203]
	v_mul_f64 v[202:203], v[216:217], v[202:203]
	s_delay_alu instid0(VALU_DEP_2) | instskip(NEXT) | instid1(VALU_DEP_2)
	v_fma_f64 v[216:217], v[216:217], v[200:201], -v[224:225]
	v_fma_f64 v[218:219], v[218:219], v[200:201], v[202:203]
	s_waitcnt vmcnt(0) lgkmcnt(0)
	v_mul_f64 v[200:201], v[222:223], v[210:211]
	v_mul_f64 v[202:203], v[220:221], v[210:211]
	s_delay_alu instid0(VALU_DEP_2) | instskip(NEXT) | instid1(VALU_DEP_2)
	v_fma_f64 v[200:201], v[220:221], v[208:209], -v[200:201]
	v_fma_f64 v[202:203], v[222:223], v[208:209], v[202:203]
	ds_store_b128 v158, v[172:175]
	ds_store_b128 v158, v[176:179] offset:1536
	ds_store_b128 v158, v[180:183] offset:3072
	;; [unrolled: 1-line block ×15, first 2 shown]
.LBB0_13:
	s_or_b32 exec_lo, exec_lo, s1
	s_waitcnt lgkmcnt(0)
	s_barrier
	buffer_gl0_inv
	s_and_saveexec_b32 s0, vcc_lo
	s_cbranch_execz .LBB0_15
; %bb.14:
	ds_load_b128 v[121:124], v158
	ds_load_b128 v[125:128], v158 offset:1536
	ds_load_b128 v[133:136], v158 offset:3072
	;; [unrolled: 1-line block ×15, first 2 shown]
.LBB0_15:
	s_or_b32 exec_lo, exec_lo, s0
	s_waitcnt lgkmcnt(7)
	v_add_f64 v[89:90], v[121:122], -v[89:90]
	v_add_f64 v[91:92], v[123:124], -v[91:92]
	s_waitcnt lgkmcnt(3)
	v_add_f64 v[105:106], v[137:138], -v[105:106]
	v_add_f64 v[107:108], v[139:140], -v[107:108]
	;; [unrolled: 1-line block ×4, first 2 shown]
	s_waitcnt lgkmcnt(1)
	v_add_f64 v[117:118], v[81:82], -v[117:118]
	v_add_f64 v[119:120], v[83:84], -v[119:120]
	;; [unrolled: 1-line block ×8, first 2 shown]
	s_waitcnt lgkmcnt(0)
	v_add_f64 v[111:112], v[87:88], -v[111:112]
	v_add_f64 v[109:110], v[85:86], -v[109:110]
	s_mov_b32 s0, 0x667f3bcd
	s_mov_b32 s1, 0xbfe6a09e
	;; [unrolled: 1-line block ×10, first 2 shown]
	s_barrier
	buffer_gl0_inv
	v_fma_f64 v[121:122], v[121:122], 2.0, -v[89:90]
	v_fma_f64 v[123:124], v[123:124], 2.0, -v[91:92]
	v_add_f64 v[147:148], v[91:92], -v[105:106]
	v_add_f64 v[145:146], v[89:90], v[107:108]
	v_fma_f64 v[105:106], v[137:138], 2.0, -v[105:106]
	v_fma_f64 v[107:108], v[139:140], 2.0, -v[107:108]
	v_add_f64 v[151:152], v[103:104], -v[117:118]
	v_add_f64 v[149:150], v[119:120], v[101:102]
	;; [unrolled: 4-line block ×3, first 2 shown]
	v_fma_f64 v[81:82], v[81:82], 2.0, -v[117:118]
	v_fma_f64 v[83:84], v[83:84], 2.0, -v[119:120]
	v_add_f64 v[164:165], v[111:112], v[97:98]
	v_add_f64 v[166:167], v[99:100], -v[109:110]
	v_fma_f64 v[117:118], v[125:126], 2.0, -v[93:94]
	v_fma_f64 v[119:120], v[127:128], 2.0, -v[95:96]
	;; [unrolled: 1-line block ×10, first 2 shown]
	v_add_f64 v[105:106], v[121:122], -v[105:106]
	v_add_f64 v[107:108], v[123:124], -v[107:108]
	v_fma_f64 v[103:104], v[103:104], 2.0, -v[151:152]
	v_fma_f64 v[101:102], v[101:102], 2.0, -v[149:150]
	v_fma_f64 v[95:96], v[95:96], 2.0, -v[155:156]
	v_fma_f64 v[93:94], v[93:94], 2.0, -v[153:154]
	v_add_f64 v[81:82], v[133:134], -v[81:82]
	v_add_f64 v[83:84], v[135:136], -v[83:84]
	v_fma_f64 v[97:98], v[97:98], 2.0, -v[164:165]
	v_fma_f64 v[99:100], v[99:100], 2.0, -v[166:167]
	v_fma_f64 v[129:130], v[164:165], s[2:3], v[153:154]
	v_fma_f64 v[131:132], v[166:167], s[2:3], v[155:156]
	v_add_f64 v[109:110], v[117:118], -v[113:114]
	v_add_f64 v[111:112], v[119:120], -v[115:116]
	v_fma_f64 v[113:114], v[149:150], s[2:3], v[145:146]
	v_fma_f64 v[115:116], v[151:152], s[2:3], v[147:148]
	v_add_f64 v[85:86], v[125:126], -v[85:86]
	v_add_f64 v[87:88], v[127:128], -v[87:88]
	v_fma_f64 v[121:122], v[121:122], 2.0, -v[105:106]
	v_fma_f64 v[123:124], v[123:124], 2.0, -v[107:108]
	v_fma_f64 v[139:140], v[103:104], s[0:1], v[91:92]
	v_fma_f64 v[137:138], v[101:102], s[0:1], v[89:90]
	v_fma_f64 v[133:134], v[133:134], 2.0, -v[81:82]
	v_fma_f64 v[135:136], v[135:136], 2.0, -v[83:84]
	v_fma_f64 v[141:142], v[97:98], s[0:1], v[93:94]
	v_fma_f64 v[143:144], v[99:100], s[0:1], v[95:96]
	v_add_f64 v[83:84], v[105:106], v[83:84]
	v_add_f64 v[81:82], v[107:108], -v[81:82]
	v_fma_f64 v[117:118], v[117:118], 2.0, -v[109:110]
	v_fma_f64 v[119:120], v[119:120], 2.0, -v[111:112]
	v_fma_f64 v[113:114], v[151:152], s[2:3], v[113:114]
	v_fma_f64 v[115:116], v[149:150], s[0:1], v[115:116]
	v_fma_f64 v[125:126], v[125:126], 2.0, -v[85:86]
	v_fma_f64 v[127:128], v[127:128], 2.0, -v[87:88]
	v_add_f64 v[87:88], v[87:88], v[109:110]
	v_add_f64 v[85:86], v[111:112], -v[85:86]
	v_fma_f64 v[149:150], v[166:167], s[2:3], v[129:130]
	v_fma_f64 v[129:130], v[164:165], s[0:1], v[131:132]
	;; [unrolled: 1-line block ×4, first 2 shown]
	v_add_f64 v[101:102], v[121:122], -v[133:134]
	v_add_f64 v[164:165], v[123:124], -v[135:136]
	v_fma_f64 v[99:100], v[99:100], s[2:3], v[141:142]
	v_fma_f64 v[97:98], v[97:98], s[0:1], v[143:144]
	v_fma_f64 v[166:167], v[105:106], 2.0, -v[83:84]
	v_fma_f64 v[168:169], v[107:108], 2.0, -v[81:82]
	v_fma_f64 v[145:146], v[145:146], 2.0, -v[113:114]
	v_fma_f64 v[147:148], v[147:148], 2.0, -v[115:116]
	v_add_f64 v[105:106], v[117:118], -v[125:126]
	v_add_f64 v[107:108], v[119:120], -v[127:128]
	v_fma_f64 v[109:110], v[109:110], 2.0, -v[87:88]
	v_fma_f64 v[111:112], v[111:112], 2.0, -v[85:86]
	;; [unrolled: 1-line block ×4, first 2 shown]
	v_fma_f64 v[125:126], v[149:150], s[18:19], v[113:114]
	v_fma_f64 v[184:185], v[129:130], s[18:19], v[115:116]
	v_fma_f64 v[155:156], v[91:92], 2.0, -v[151:152]
	v_fma_f64 v[153:154], v[89:90], 2.0, -v[103:104]
	;; [unrolled: 1-line block ×6, first 2 shown]
	v_fma_f64 v[93:94], v[87:88], s[2:3], v[83:84]
	v_fma_f64 v[95:96], v[85:86], s[2:3], v[81:82]
	v_fma_f64 v[176:177], v[99:100], s[14:15], v[103:104]
	v_fma_f64 v[178:179], v[97:98], s[14:15], v[151:152]
	v_fma_f64 v[117:118], v[117:118], 2.0, -v[105:106]
	v_fma_f64 v[119:120], v[119:120], 2.0, -v[107:108]
	v_fma_f64 v[127:128], v[109:110], s[0:1], v[166:167]
	v_fma_f64 v[135:136], v[111:112], s[0:1], v[168:169]
	;; [unrolled: 1-line block ×4, first 2 shown]
	v_add_f64 v[121:122], v[101:102], v[107:108]
	v_add_f64 v[123:124], v[164:165], -v[105:106]
	v_fma_f64 v[141:142], v[129:130], s[14:15], v[125:126]
	v_fma_f64 v[180:181], v[89:90], s[10:11], v[153:154]
	;; [unrolled: 1-line block ×5, first 2 shown]
	v_add_f64 v[105:106], v[170:171], -v[117:118]
	v_add_f64 v[107:108], v[172:173], -v[119:120]
	v_fma_f64 v[125:126], v[111:112], s[2:3], v[127:128]
	v_fma_f64 v[127:128], v[109:110], s[0:1], v[135:136]
	;; [unrolled: 1-line block ×7, first 2 shown]
	v_fma_f64 v[113:114], v[113:114], 2.0, -v[141:142]
	v_fma_f64 v[117:118], v[91:92], s[14:15], v[180:181]
	v_fma_f64 v[119:120], v[89:90], s[16:17], v[182:183]
	v_fma_f64 v[89:90], v[101:102], 2.0, -v[121:122]
	v_fma_f64 v[91:92], v[164:165], 2.0, -v[123:124]
	;; [unrolled: 1-line block ×15, first 2 shown]
	s_and_saveexec_b32 s0, vcc_lo
	s_cbranch_execz .LBB0_17
; %bb.16:
	ds_store_b128 v162, v[81:84]
	ds_store_b128 v162, v[85:88] offset:16
	ds_store_b128 v162, v[93:96] offset:32
	ds_store_b128 v162, v[97:100] offset:48
	ds_store_b128 v162, v[89:92] offset:64
	ds_store_b128 v162, v[101:104] offset:80
	ds_store_b128 v162, v[109:112] offset:96
	ds_store_b128 v162, v[113:116] offset:112
	ds_store_b128 v162, v[105:108] offset:128
	ds_store_b128 v162, v[117:120] offset:144
	ds_store_b128 v162, v[125:128] offset:160
	ds_store_b128 v162, v[129:132] offset:176
	ds_store_b128 v162, v[121:124] offset:192
	ds_store_b128 v162, v[133:136] offset:208
	ds_store_b128 v162, v[137:140] offset:224
	ds_store_b128 v162, v[141:144] offset:240
.LBB0_17:
	s_or_b32 exec_lo, exec_lo, s0
	s_waitcnt lgkmcnt(0)
	s_barrier
	buffer_gl0_inv
	s_and_saveexec_b32 s0, vcc_lo
	s_cbranch_execz .LBB0_19
; %bb.18:
	ds_load_b128 v[81:84], v158
	ds_load_b128 v[85:88], v158 offset:1536
	ds_load_b128 v[93:96], v158 offset:3072
	;; [unrolled: 1-line block ×15, first 2 shown]
.LBB0_19:
	s_or_b32 exec_lo, exec_lo, s0
	s_waitcnt lgkmcnt(0)
	s_barrier
	buffer_gl0_inv
	s_and_saveexec_b32 s10, vcc_lo
	s_cbranch_execz .LBB0_21
; %bb.20:
	v_mul_f64 v[145:146], v[15:16], v[93:94]
	v_mul_f64 v[147:148], v[39:40], v[125:126]
	;; [unrolled: 1-line block ×30, first 2 shown]
	s_mov_b32 s0, 0x667f3bcd
	s_mov_b32 s1, 0x3fe6a09e
	;; [unrolled: 1-line block ×8, first 2 shown]
	v_fma_f64 v[95:96], v[13:14], v[95:96], -v[145:146]
	v_fma_f64 v[127:128], v[37:38], v[127:128], -v[147:148]
	v_fma_f64 v[109:110], v[25:26], v[109:110], v[149:150]
	v_fma_f64 v[137:138], v[57:58], v[137:138], v[151:152]
	v_fma_f64 v[107:108], v[17:18], v[107:108], -v[153:154]
	v_fma_f64 v[89:90], v[5:6], v[89:90], v[155:156]
	v_fma_f64 v[121:122], v[29:30], v[121:122], v[164:165]
	v_fma_f64 v[25:26], v[25:26], v[111:112], -v[27:28]
	v_fma_f64 v[27:28], v[57:58], v[139:140], -v[59:60]
	v_fma_f64 v[13:14], v[13:14], v[93:94], v[15:16]
	v_fma_f64 v[15:16], v[37:38], v[125:126], v[39:40]
	v_fma_f64 v[37:38], v[9:10], v[99:100], -v[166:167]
	;; [unrolled: 4-line block ×6, first 2 shown]
	v_fma_f64 v[7:8], v[29:30], v[123:124], -v[31:32]
	v_fma_f64 v[17:18], v[17:18], v[105:106], v[19:20]
	s_mov_b32 s19, 0x3fd87de2
	s_mov_b32 s18, s16
	;; [unrolled: 1-line block ×4, first 2 shown]
	v_add_f64 v[19:20], v[95:96], -v[127:128]
	v_add_f64 v[29:30], v[109:110], -v[137:138]
	;; [unrolled: 1-line block ×17, first 2 shown]
	v_fma_f64 v[83:84], v[83:84], 2.0, -v[31:32]
	v_add_f64 v[47:48], v[31:32], -v[33:34]
	v_fma_f64 v[33:34], v[89:90], 2.0, -v[33:34]
	v_fma_f64 v[25:26], v[25:26], 2.0, -v[27:28]
	v_add_f64 v[53:54], v[27:28], v[15:16]
	v_add_f64 v[59:60], v[35:36], -v[39:40]
	v_fma_f64 v[39:40], v[57:58], 2.0, -v[39:40]
	v_add_f64 v[55:56], v[41:42], -v[43:44]
	v_fma_f64 v[27:28], v[99:100], 2.0, -v[43:44]
	v_fma_f64 v[43:44], v[87:88], 2.0, -v[41:42]
	v_add_f64 v[85:86], v[45:46], v[11:12]
	v_fma_f64 v[9:10], v[9:10], 2.0, -v[11:12]
	v_fma_f64 v[21:22], v[21:22], 2.0, -v[23:24]
	v_add_f64 v[91:92], v[23:24], v[3:4]
	;; [unrolled: 3-line block ×3, first 2 shown]
	v_fma_f64 v[7:8], v[13:14], 2.0, -v[15:16]
	v_fma_f64 v[13:14], v[109:110], 2.0, -v[29:30]
	;; [unrolled: 1-line block ×8, first 2 shown]
	v_fma_f64 v[49:50], v[51:52], s[0:1], v[47:48]
	v_fma_f64 v[15:16], v[15:16], 2.0, -v[53:54]
	v_fma_f64 v[35:36], v[35:36], 2.0, -v[59:60]
	;; [unrolled: 1-line block ×3, first 2 shown]
	v_fma_f64 v[57:58], v[59:60], s[0:1], v[55:56]
	v_fma_f64 v[11:12], v[11:12], 2.0, -v[85:86]
	v_add_f64 v[39:40], v[9:10], -v[39:40]
	v_add_f64 v[21:22], v[43:44], -v[21:22]
	v_fma_f64 v[3:4], v[3:4], 2.0, -v[91:92]
	v_add_f64 v[27:28], v[1:2], -v[27:28]
	v_add_f64 v[5:6], v[83:84], -v[5:6]
	v_fma_f64 v[17:18], v[17:18], 2.0, -v[93:94]
	v_fma_f64 v[81:82], v[85:86], s[0:1], v[91:92]
	v_add_f64 v[13:14], v[7:8], -v[13:14]
	v_add_f64 v[25:26], v[29:30], -v[25:26]
	v_fma_f64 v[87:88], v[53:54], s[0:1], v[93:94]
	v_add_f64 v[37:38], v[23:24], -v[37:38]
	v_add_f64 v[33:34], v[45:46], -v[33:34]
	v_fma_f64 v[89:90], v[19:20], s[2:3], v[31:32]
	v_fma_f64 v[49:50], v[53:54], s[2:3], v[49:50]
	;; [unrolled: 1-line block ×4, first 2 shown]
	v_fma_f64 v[9:10], v[9:10], 2.0, -v[39:40]
	v_add_f64 v[39:40], v[21:22], -v[39:40]
	v_fma_f64 v[97:98], v[11:12], s[2:3], v[3:4]
	v_fma_f64 v[1:2], v[1:2], 2.0, -v[27:28]
	v_fma_f64 v[57:58], v[83:84], 2.0, -v[5:6]
	v_fma_f64 v[99:100], v[15:16], s[2:3], v[17:18]
	v_fma_f64 v[59:60], v[59:60], s[0:1], v[81:82]
	v_add_f64 v[81:82], v[5:6], -v[13:14]
	v_fma_f64 v[29:30], v[29:30], 2.0, -v[25:26]
	v_fma_f64 v[51:52], v[51:52], s[0:1], v[87:88]
	v_add_f64 v[83:84], v[37:38], v[27:28]
	v_add_f64 v[85:86], v[33:34], v[25:26]
	v_fma_f64 v[25:26], v[45:46], 2.0, -v[33:34]
	v_fma_f64 v[7:8], v[7:8], 2.0, -v[13:14]
	;; [unrolled: 1-line block ×4, first 2 shown]
	v_fma_f64 v[87:88], v[15:16], s[2:3], v[89:90]
	v_fma_f64 v[45:46], v[47:48], 2.0, -v[49:50]
	v_fma_f64 v[37:38], v[11:12], s[2:3], v[95:96]
	v_fma_f64 v[21:22], v[21:22], 2.0, -v[39:40]
	v_fma_f64 v[35:36], v[35:36], s[0:1], v[97:98]
	v_add_f64 v[9:10], v[1:2], -v[9:10]
	v_fma_f64 v[89:90], v[19:20], s[0:1], v[99:100]
	v_fma_f64 v[15:16], v[91:92], 2.0, -v[59:60]
	v_add_f64 v[43:44], v[57:58], -v[29:30]
	v_fma_f64 v[29:30], v[55:56], 2.0, -v[53:54]
	v_fma_f64 v[55:56], v[5:6], 2.0, -v[81:82]
	;; [unrolled: 1-line block ×5, first 2 shown]
	v_add_f64 v[47:48], v[25:26], -v[7:8]
	v_add_f64 v[23:24], v[13:14], -v[23:24]
	v_fma_f64 v[5:6], v[39:40], s[0:1], v[81:82]
	v_fma_f64 v[11:12], v[83:84], s[0:1], v[85:86]
	v_fma_f64 v[95:96], v[31:32], 2.0, -v[87:88]
	v_fma_f64 v[33:34], v[41:42], 2.0, -v[37:38]
	v_fma_f64 v[27:28], v[37:38], s[18:19], v[87:88]
	v_fma_f64 v[31:32], v[3:4], 2.0, -v[35:36]
	v_fma_f64 v[3:4], v[53:54], s[14:15], v[49:50]
	;; [unrolled: 2-line block ×3, first 2 shown]
	v_fma_f64 v[41:42], v[35:36], s[18:19], v[89:90]
	v_fma_f64 v[57:58], v[57:58], 2.0, -v[43:44]
	v_fma_f64 v[99:100], v[29:30], s[16:17], v[45:46]
	v_fma_f64 v[101:102], v[21:22], s[2:3], v[55:56]
	;; [unrolled: 1-line block ×4, first 2 shown]
	v_fma_f64 v[109:110], v[25:26], 2.0, -v[47:48]
	v_fma_f64 v[107:108], v[13:14], 2.0, -v[23:24]
	;; [unrolled: 1-line block ×3, first 2 shown]
	v_fma_f64 v[7:8], v[83:84], s[2:3], v[5:6]
	v_fma_f64 v[5:6], v[39:40], s[0:1], v[11:12]
	v_add_f64 v[11:12], v[43:44], -v[9:10]
	v_add_f64 v[9:10], v[47:48], v[23:24]
	v_fma_f64 v[111:112], v[33:34], s[20:21], v[95:96]
	v_fma_f64 v[23:24], v[35:36], s[20:21], v[27:28]
	;; [unrolled: 1-line block ×10, first 2 shown]
	v_add_f64 v[27:28], v[57:58], -v[107:108]
	v_add_f64 v[25:26], v[109:110], -v[25:26]
	v_fma_f64 v[39:40], v[81:82], 2.0, -v[7:8]
	v_fma_f64 v[37:38], v[85:86], 2.0, -v[5:6]
	v_fma_f64 v[43:44], v[43:44], 2.0, -v[11:12]
	v_fma_f64 v[41:42], v[47:48], 2.0, -v[9:10]
	v_and_or_b32 v85, 0x700, v158, v161
	s_delay_alu instid0(VALU_DEP_1)
	v_lshlrev_b32_e32 v85, 4, v85
	v_fma_f64 v[31:32], v[31:32], s[16:17], v[111:112]
	v_fma_f64 v[35:36], v[49:50], 2.0, -v[3:4]
	v_fma_f64 v[29:30], v[33:34], s[18:19], v[113:114]
	v_fma_f64 v[33:34], v[51:52], 2.0, -v[1:2]
	v_fma_f64 v[47:48], v[45:46], 2.0, -v[15:16]
	;; [unrolled: 1-line block ×11, first 2 shown]
	ds_store_b128 v85, v[37:40] offset:1536
	ds_store_b128 v85, v[33:36] offset:1792
	;; [unrolled: 1-line block ×12, first 2 shown]
	ds_store_b128 v85, v[57:60]
	ds_store_b128 v85, v[81:84] offset:256
	ds_store_b128 v85, v[5:8] offset:3584
	;; [unrolled: 1-line block ×3, first 2 shown]
.LBB0_21:
	s_or_b32 exec_lo, exec_lo, s10
	s_waitcnt lgkmcnt(0)
	s_barrier
	buffer_gl0_inv
	ds_load_b128 v[1:4], v158 offset:12288
	ds_load_b128 v[5:8], v158 offset:20480
	;; [unrolled: 1-line block ×3, first 2 shown]
	s_mov_b32 s0, 0xe8584caa
	s_mov_b32 s1, 0xbfebb67a
	s_mov_b32 s3, 0x3febb67a
	s_mov_b32 s2, s0
	s_waitcnt lgkmcnt(2)
	v_mul_f64 v[13:14], v[63:64], v[1:2]
	s_waitcnt lgkmcnt(1)
	v_mul_f64 v[15:16], v[79:80], v[5:6]
	s_waitcnt lgkmcnt(0)
	v_mul_f64 v[21:22], v[67:68], v[9:10]
	v_mul_f64 v[23:24], v[63:64], v[3:4]
	v_mul_f64 v[25:26], v[79:80], v[7:8]
	v_fma_f64 v[27:28], v[61:62], v[3:4], -v[13:14]
	v_fma_f64 v[7:8], v[77:78], v[7:8], -v[15:16]
	ds_load_b128 v[13:16], v158 offset:8192
	ds_load_b128 v[17:20], v158 offset:16384
	v_mul_f64 v[3:4], v[67:68], v[11:12]
	v_fma_f64 v[23:24], v[61:62], v[1:2], v[23:24]
	v_fma_f64 v[5:6], v[77:78], v[5:6], v[25:26]
	v_fma_f64 v[11:12], v[65:66], v[11:12], -v[21:22]
	s_waitcnt lgkmcnt(1)
	v_mul_f64 v[29:30], v[75:76], v[15:16]
	v_mul_f64 v[31:32], v[75:76], v[13:14]
	s_waitcnt lgkmcnt(0)
	v_mul_f64 v[33:34], v[71:72], v[19:20]
	v_mul_f64 v[35:36], v[71:72], v[17:18]
	v_add_f64 v[1:2], v[27:28], v[7:8]
	v_fma_f64 v[9:10], v[65:66], v[9:10], v[3:4]
	v_add_f64 v[3:4], v[23:24], v[5:6]
	v_add_f64 v[21:22], v[23:24], -v[5:6]
	v_fma_f64 v[13:14], v[73:74], v[13:14], v[29:30]
	v_fma_f64 v[15:16], v[73:74], v[15:16], -v[31:32]
	v_fma_f64 v[17:18], v[69:70], v[17:18], v[33:34]
	v_fma_f64 v[19:20], v[69:70], v[19:20], -v[35:36]
	v_add_f64 v[31:32], v[27:28], -v[7:8]
	v_fma_f64 v[1:2], v[1:2], -0.5, v[11:12]
	v_add_f64 v[11:12], v[11:12], v[27:28]
	v_fma_f64 v[33:34], v[3:4], -0.5, v[9:10]
	v_add_f64 v[9:10], v[9:10], v[23:24]
	v_add_f64 v[25:26], v[13:14], v[17:18]
	v_add_f64 v[29:30], v[15:16], v[19:20]
	v_add_f64 v[39:40], v[15:16], -v[19:20]
	v_fma_f64 v[35:36], v[21:22], s[2:3], v[1:2]
	v_fma_f64 v[21:22], v[21:22], s[0:1], v[1:2]
	ds_load_b128 v[1:4], v158
	v_add_f64 v[7:8], v[11:12], v[7:8]
	v_fma_f64 v[23:24], v[31:32], s[0:1], v[33:34]
	v_add_f64 v[5:6], v[9:10], v[5:6]
	s_waitcnt lgkmcnt(0)
	v_add_f64 v[37:38], v[1:2], v[13:14]
	v_add_f64 v[15:16], v[3:4], v[15:16]
	v_add_f64 v[13:14], v[13:14], -v[17:18]
	v_fma_f64 v[1:2], v[25:26], -0.5, v[1:2]
	v_fma_f64 v[3:4], v[29:30], -0.5, v[3:4]
	v_fma_f64 v[25:26], v[31:32], s[2:3], v[33:34]
	v_mul_f64 v[27:28], v[35:36], s[0:1]
	v_mul_f64 v[31:32], v[35:36], 0.5
	v_mul_f64 v[29:30], v[21:22], s[0:1]
	v_mul_f64 v[21:22], v[21:22], -0.5
	v_add_f64 v[17:18], v[37:38], v[17:18]
	v_add_f64 v[15:16], v[15:16], v[19:20]
	v_fma_f64 v[19:20], v[39:40], s[0:1], v[1:2]
	v_fma_f64 v[35:36], v[13:14], s[2:3], v[3:4]
	v_fma_f64 v[33:34], v[39:40], s[2:3], v[1:2]
	v_fma_f64 v[37:38], v[13:14], s[0:1], v[3:4]
	v_fma_f64 v[27:28], v[23:24], 0.5, v[27:28]
	v_fma_f64 v[23:24], v[23:24], s[2:3], v[31:32]
	v_fma_f64 v[29:30], v[25:26], -0.5, v[29:30]
	v_fma_f64 v[25:26], v[25:26], s[2:3], v[21:22]
	v_add_f64 v[1:2], v[17:18], v[5:6]
	v_add_f64 v[3:4], v[15:16], v[7:8]
	v_add_f64 v[7:8], v[15:16], -v[7:8]
	v_add_f64 v[5:6], v[17:18], -v[5:6]
	v_add_f64 v[9:10], v[19:20], v[27:28]
	v_add_f64 v[11:12], v[35:36], v[23:24]
	;; [unrolled: 1-line block ×4, first 2 shown]
	v_add_f64 v[17:18], v[19:20], -v[27:28]
	v_add_f64 v[19:20], v[35:36], -v[23:24]
	;; [unrolled: 1-line block ×4, first 2 shown]
	ds_store_b128 v158, v[1:4]
	ds_store_b128 v158, v[9:12] offset:4096
	ds_store_b128 v158, v[13:16] offset:8192
	;; [unrolled: 1-line block ×5, first 2 shown]
	s_waitcnt lgkmcnt(0)
	s_barrier
	buffer_gl0_inv
	s_and_b32 exec_lo, exec_lo, vcc_lo
	s_cbranch_execz .LBB0_23
; %bb.22:
	v_mad_u64_u32 v[83:84], null, s4, v0, 0
	v_lshlrev_b32_e32 v27, 4, v160
	v_mad_u64_u32 v[75:76], null, s6, v157, 0
	v_add_co_u32 v9, s0, s12, v158
	s_delay_alu instid0(VALU_DEP_1) | instskip(SKIP_1) | instid1(VALU_DEP_3)
	v_add_co_ci_u32_e64 v10, null, s13, 0, s0
	v_mov_b32_e32 v60, v84
	v_add_co_u32 v23, vcc_lo, 0x1000, v9
	s_delay_alu instid0(VALU_DEP_3) | instskip(NEXT) | instid1(VALU_DEP_3)
	v_add_co_ci_u32_e32 v24, vcc_lo, 0, v10, vcc_lo
	v_mad_u64_u32 v[77:78], null, s5, v0, v[60:61]
	v_mov_b32_e32 v59, v76
	v_add_co_u32 v39, vcc_lo, 0x2000, v9
	s_clause 0x2
	global_load_b128 v[1:4], v158, s[12:13]
	global_load_b128 v[5:8], v158, s[12:13] offset:1536
	global_load_b128 v[11:14], v158, s[12:13] offset:3072
	v_add_co_ci_u32_e32 v40, vcc_lo, 0, v10, vcc_lo
	v_mov_b32_e32 v84, v77
	v_mad_u64_u32 v[67:68], null, s7, v157, v[59:60]
	v_lshlrev_b32_e32 v35, 4, v159
	global_load_b128 v[15:18], v163, s[12:13]
	v_add_co_u32 v47, vcc_lo, 0x3000, v9
	v_add_co_ci_u32_e32 v48, vcc_lo, 0, v10, vcc_lo
	v_mov_b32_e32 v76, v67
	s_clause 0x5
	global_load_b128 v[19:22], v[23:24], off offset:512
	global_load_b128 v[23:26], v[23:24], off offset:3584
	global_load_b128 v[27:30], v27, s[12:13]
	global_load_b128 v[31:34], v[39:40], off offset:1024
	global_load_b128 v[35:38], v35, s[12:13]
	global_load_b128 v[39:42], v[39:40], off offset:2560
	v_add_co_u32 v55, vcc_lo, 0x4000, v9
	v_add_co_ci_u32_e32 v56, vcc_lo, 0, v10, vcc_lo
	s_clause 0x3
	global_load_b128 v[43:46], v[47:48], off offset:1536
	global_load_b128 v[47:50], v[47:48], off offset:3072
	;; [unrolled: 1-line block ×4, first 2 shown]
	v_lshlrev_b64 v[85:86], 4, v[75:76]
	v_lshlrev_b64 v[83:84], 4, v[83:84]
	ds_load_b128 v[59:62], v158
	ds_load_b128 v[63:66], v158 offset:1536
	ds_load_b128 v[67:70], v158 offset:3072
	;; [unrolled: 1-line block ×5, first 2 shown]
	v_mad_u64_u32 v[115:116], null, s4, v160, 0
	v_add_co_u32 v165, vcc_lo, s8, v85
	v_add_co_ci_u32_e32 v166, vcc_lo, s9, v86, vcc_lo
	s_mul_i32 s3, s5, 0x600
	s_delay_alu instid0(VALU_DEP_2) | instskip(NEXT) | instid1(VALU_DEP_2)
	v_add_co_u32 v117, vcc_lo, v165, v83
	v_add_co_ci_u32_e32 v118, vcc_lo, v166, v84, vcc_lo
	ds_load_b128 v[83:86], v158 offset:9216
	ds_load_b128 v[87:90], v158 offset:10752
	;; [unrolled: 1-line block ×8, first 2 shown]
	v_mov_b32_e32 v0, v116
	s_mul_hi_u32 s6, s4, 0x600
	s_mul_i32 s2, s4, 0x600
	s_add_i32 s3, s6, s3
	v_add_co_u32 v119, vcc_lo, v117, s2
	v_add_co_ci_u32_e32 v120, vcc_lo, s3, v118, vcc_lo
	v_mad_u64_u32 v[125:126], null, s4, v159, 0
	s_delay_alu instid0(VALU_DEP_3) | instskip(NEXT) | instid1(VALU_DEP_3)
	v_add_co_u32 v121, vcc_lo, v119, s2
	v_add_co_ci_u32_e32 v122, vcc_lo, s3, v120, vcc_lo
	s_mul_i32 s7, s5, 0xc00
	s_delay_alu instid0(VALU_DEP_2) | instskip(NEXT) | instid1(VALU_DEP_2)
	v_add_co_u32 v123, vcc_lo, v121, s2
	v_add_co_ci_u32_e32 v124, vcc_lo, s3, v122, vcc_lo
	s_mov_b32 s0, 0x55555555
	v_mov_b32_e32 v116, v126
	s_mov_b32 s1, 0x3f455555
	s_delay_alu instid0(VALU_DEP_2) | instskip(NEXT) | instid1(VALU_DEP_2)
	v_mad_u64_u32 v[127:128], null, 0xc00, s4, v[123:124]
	v_mad_u64_u32 v[162:163], null, s5, v159, v[116:117]
	s_delay_alu instid0(VALU_DEP_2) | instskip(NEXT) | instid1(VALU_DEP_2)
	v_add_nc_u32_e32 v128, s7, v128
	v_mov_b32_e32 v126, v162
	s_waitcnt vmcnt(13)
	v_mad_u64_u32 v[129:130], null, s5, v160, v[0:1]
	s_waitcnt lgkmcnt(13)
	v_mul_f64 v[130:131], v[61:62], v[3:4]
	v_mul_f64 v[3:4], v[59:60], v[3:4]
	s_waitcnt vmcnt(12) lgkmcnt(12)
	v_mul_f64 v[132:133], v[65:66], v[7:8]
	v_mul_f64 v[7:8], v[63:64], v[7:8]
	s_waitcnt vmcnt(11) lgkmcnt(11)
	v_mul_f64 v[134:135], v[69:70], v[13:14]
	v_mul_f64 v[13:14], v[67:68], v[13:14]
	v_add_co_u32 v160, vcc_lo, v127, s2
	s_waitcnt vmcnt(9) lgkmcnt(10)
	v_mul_f64 v[142:143], v[73:74], v[21:22]
	v_mul_f64 v[21:22], v[71:72], v[21:22]
	s_waitcnt vmcnt(7) lgkmcnt(9)
	v_mul_f64 v[138:139], v[77:78], v[29:30]
	v_mul_f64 v[29:30], v[75:76], v[29:30]
	;; [unrolled: 3-line block ×3, first 2 shown]
	v_mul_f64 v[144:145], v[81:82], v[25:26]
	v_mul_f64 v[25:26], v[79:80], v[25:26]
	;; [unrolled: 1-line block ×4, first 2 shown]
	s_waitcnt vmcnt(4)
	v_mul_f64 v[148:149], v[89:90], v[41:42]
	v_mul_f64 v[41:42], v[87:88], v[41:42]
	;; [unrolled: 1-line block ×4, first 2 shown]
	s_waitcnt vmcnt(3)
	v_mul_f64 v[150:151], v[97:98], v[45:46]
	v_mul_f64 v[45:46], v[95:96], v[45:46]
	s_waitcnt vmcnt(2) lgkmcnt(2)
	v_mul_f64 v[152:153], v[105:106], v[49:50]
	v_mul_f64 v[49:50], v[103:104], v[49:50]
	s_waitcnt vmcnt(1) lgkmcnt(1)
	;; [unrolled: 3-line block ×3, first 2 shown]
	v_mul_f64 v[156:157], v[113:114], v[57:58]
	v_mul_f64 v[57:58], v[111:112], v[57:58]
	v_add_co_ci_u32_e32 v161, vcc_lo, s3, v128, vcc_lo
	v_add_co_u32 v163, vcc_lo, v160, s2
	v_mov_b32_e32 v116, v129
	s_delay_alu instid0(VALU_DEP_3)
	v_add_co_ci_u32_e32 v164, vcc_lo, s3, v161, vcc_lo
	v_fma_f64 v[59:60], v[59:60], v[1:2], v[130:131]
	v_fma_f64 v[2:3], v[1:2], v[61:62], -v[3:4]
	v_fma_f64 v[61:62], v[63:64], v[5:6], v[132:133]
	v_fma_f64 v[6:7], v[5:6], v[65:66], -v[7:8]
	;; [unrolled: 2-line block ×3, first 2 shown]
	v_fma_f64 v[69:70], v[19:20], v[73:74], -v[21:22]
	v_fma_f64 v[67:68], v[75:76], v[27:28], v[138:139]
	v_fma_f64 v[27:28], v[27:28], v[77:78], -v[29:30]
	v_fma_f64 v[29:30], v[99:100], v[35:36], v[140:141]
	;; [unrolled: 2-line block ×3, first 2 shown]
	v_fma_f64 v[71:72], v[79:80], v[23:24], v[144:145]
	v_fma_f64 v[73:74], v[23:24], v[81:82], -v[25:26]
	v_fma_f64 v[75:76], v[83:84], v[31:32], v[146:147]
	v_fma_f64 v[77:78], v[31:32], v[85:86], -v[33:34]
	;; [unrolled: 2-line block ×8, first 2 shown]
	v_add_co_u32 v89, vcc_lo, v163, s2
	v_add_co_ci_u32_e32 v90, vcc_lo, s3, v164, vcc_lo
	s_delay_alu instid0(VALU_DEP_2)
	v_add_co_u32 v91, vcc_lo, v89, s2
	v_mul_f64 v[0:1], v[59:60], s[0:1]
	v_mul_f64 v[2:3], v[2:3], s[0:1]
	;; [unrolled: 1-line block ×6, first 2 shown]
	v_add_co_ci_u32_e32 v92, vcc_lo, s3, v90, vcc_lo
	v_add_co_u32 v59, vcc_lo, v91, s2
	v_mul_f64 v[19:20], v[67:68], s[0:1]
	v_mul_f64 v[21:22], v[27:28], s[0:1]
	;; [unrolled: 1-line block ×22, first 2 shown]
	v_add_co_ci_u32_e32 v60, vcc_lo, s3, v92, vcc_lo
	v_add_co_u32 v63, vcc_lo, v59, s2
	v_lshlrev_b64 v[61:62], 4, v[115:116]
	s_delay_alu instid0(VALU_DEP_3) | instskip(SKIP_2) | instid1(VALU_DEP_3)
	v_add_co_ci_u32_e32 v64, vcc_lo, s3, v60, vcc_lo
	v_add_co_u32 v65, vcc_lo, 0x5000, v9
	v_lshlrev_b64 v[8:9], 4, v[125:126]
	v_mad_u64_u32 v[67:68], null, 0xc00, s4, v[63:64]
	v_add_co_ci_u32_e32 v66, vcc_lo, 0, v10, vcc_lo
	v_add_co_u32 v61, vcc_lo, v165, v61
	v_add_co_ci_u32_e32 v62, vcc_lo, v166, v62, vcc_lo
	v_add_co_u32 v8, vcc_lo, v165, v8
	v_add_co_ci_u32_e32 v9, vcc_lo, v166, v9, vcc_lo
	v_add_nc_u32_e32 v68, s7, v68
	s_clause 0x5
	global_store_b128 v[117:118], v[0:3], off
	global_store_b128 v[119:120], v[4:7], off
	global_store_b128 v[121:122], v[11:14], off
	global_store_b128 v[123:124], v[27:30], off
	global_store_b128 v[61:62], v[19:22], off
	global_store_b128 v[127:128], v[31:34], off
	global_store_b128 v[160:161], v[35:38], off
	global_store_b128 v[163:164], v[39:42], off
	global_store_b128 v[89:90], v[15:18], off
	global_store_b128 v[91:92], v[43:46], off
	global_store_b128 v[59:60], v[47:50], off
	global_store_b128 v[63:64], v[51:54], off
	global_store_b128 v[8:9], v[23:26], off
	global_store_b128 v[67:68], v[55:58], off
	global_load_b128 v[0:3], v[65:66], off offset:1024
	ds_load_b128 v[4:7], v158 offset:21504
	ds_load_b128 v[8:11], v158 offset:23040
	s_waitcnt vmcnt(0) lgkmcnt(1)
	v_mul_f64 v[12:13], v[6:7], v[2:3]
	v_mul_f64 v[2:3], v[4:5], v[2:3]
	s_delay_alu instid0(VALU_DEP_2) | instskip(NEXT) | instid1(VALU_DEP_2)
	v_fma_f64 v[4:5], v[4:5], v[0:1], v[12:13]
	v_fma_f64 v[2:3], v[0:1], v[6:7], -v[2:3]
	s_delay_alu instid0(VALU_DEP_2) | instskip(NEXT) | instid1(VALU_DEP_2)
	v_mul_f64 v[0:1], v[4:5], s[0:1]
	v_mul_f64 v[2:3], v[2:3], s[0:1]
	v_add_co_u32 v4, vcc_lo, v67, s2
	v_add_co_ci_u32_e32 v5, vcc_lo, s3, v68, vcc_lo
	global_store_b128 v[4:5], v[0:3], off
	global_load_b128 v[0:3], v[65:66], off offset:2560
	v_add_co_u32 v4, vcc_lo, v4, s2
	v_add_co_ci_u32_e32 v5, vcc_lo, s3, v5, vcc_lo
	s_waitcnt vmcnt(0) lgkmcnt(0)
	v_mul_f64 v[6:7], v[10:11], v[2:3]
	v_mul_f64 v[2:3], v[8:9], v[2:3]
	s_delay_alu instid0(VALU_DEP_2) | instskip(NEXT) | instid1(VALU_DEP_2)
	v_fma_f64 v[6:7], v[8:9], v[0:1], v[6:7]
	v_fma_f64 v[2:3], v[0:1], v[10:11], -v[2:3]
	s_delay_alu instid0(VALU_DEP_2) | instskip(NEXT) | instid1(VALU_DEP_2)
	v_mul_f64 v[0:1], v[6:7], s[0:1]
	v_mul_f64 v[2:3], v[2:3], s[0:1]
	global_store_b128 v[4:5], v[0:3], off
.LBB0_23:
	s_nop 0
	s_sendmsg sendmsg(MSG_DEALLOC_VGPRS)
	s_endpgm
	.section	.rodata,"a",@progbits
	.p2align	6, 0x0
	.amdhsa_kernel bluestein_single_fwd_len1536_dim1_dp_op_CI_CI
		.amdhsa_group_segment_fixed_size 24576
		.amdhsa_private_segment_fixed_size 0
		.amdhsa_kernarg_size 104
		.amdhsa_user_sgpr_count 15
		.amdhsa_user_sgpr_dispatch_ptr 0
		.amdhsa_user_sgpr_queue_ptr 0
		.amdhsa_user_sgpr_kernarg_segment_ptr 1
		.amdhsa_user_sgpr_dispatch_id 0
		.amdhsa_user_sgpr_private_segment_size 0
		.amdhsa_wavefront_size32 1
		.amdhsa_uses_dynamic_stack 0
		.amdhsa_enable_private_segment 0
		.amdhsa_system_sgpr_workgroup_id_x 1
		.amdhsa_system_sgpr_workgroup_id_y 0
		.amdhsa_system_sgpr_workgroup_id_z 0
		.amdhsa_system_sgpr_workgroup_info 0
		.amdhsa_system_vgpr_workitem_id 0
		.amdhsa_next_free_vgpr 226
		.amdhsa_next_free_sgpr 22
		.amdhsa_reserve_vcc 1
		.amdhsa_float_round_mode_32 0
		.amdhsa_float_round_mode_16_64 0
		.amdhsa_float_denorm_mode_32 3
		.amdhsa_float_denorm_mode_16_64 3
		.amdhsa_dx10_clamp 1
		.amdhsa_ieee_mode 1
		.amdhsa_fp16_overflow 0
		.amdhsa_workgroup_processor_mode 1
		.amdhsa_memory_ordered 1
		.amdhsa_forward_progress 0
		.amdhsa_shared_vgpr_count 0
		.amdhsa_exception_fp_ieee_invalid_op 0
		.amdhsa_exception_fp_denorm_src 0
		.amdhsa_exception_fp_ieee_div_zero 0
		.amdhsa_exception_fp_ieee_overflow 0
		.amdhsa_exception_fp_ieee_underflow 0
		.amdhsa_exception_fp_ieee_inexact 0
		.amdhsa_exception_int_div_zero 0
	.end_amdhsa_kernel
	.text
.Lfunc_end0:
	.size	bluestein_single_fwd_len1536_dim1_dp_op_CI_CI, .Lfunc_end0-bluestein_single_fwd_len1536_dim1_dp_op_CI_CI
                                        ; -- End function
	.section	.AMDGPU.csdata,"",@progbits
; Kernel info:
; codeLenInByte = 13752
; NumSgprs: 24
; NumVgprs: 226
; ScratchSize: 0
; MemoryBound: 0
; FloatMode: 240
; IeeeMode: 1
; LDSByteSize: 24576 bytes/workgroup (compile time only)
; SGPRBlocks: 2
; VGPRBlocks: 28
; NumSGPRsForWavesPerEU: 24
; NumVGPRsForWavesPerEU: 226
; Occupancy: 6
; WaveLimiterHint : 1
; COMPUTE_PGM_RSRC2:SCRATCH_EN: 0
; COMPUTE_PGM_RSRC2:USER_SGPR: 15
; COMPUTE_PGM_RSRC2:TRAP_HANDLER: 0
; COMPUTE_PGM_RSRC2:TGID_X_EN: 1
; COMPUTE_PGM_RSRC2:TGID_Y_EN: 0
; COMPUTE_PGM_RSRC2:TGID_Z_EN: 0
; COMPUTE_PGM_RSRC2:TIDIG_COMP_CNT: 0
	.text
	.p2alignl 7, 3214868480
	.fill 96, 4, 3214868480
	.type	__hip_cuid_3b04b95e5a4775d,@object ; @__hip_cuid_3b04b95e5a4775d
	.section	.bss,"aw",@nobits
	.globl	__hip_cuid_3b04b95e5a4775d
__hip_cuid_3b04b95e5a4775d:
	.byte	0                               ; 0x0
	.size	__hip_cuid_3b04b95e5a4775d, 1

	.ident	"AMD clang version 19.0.0git (https://github.com/RadeonOpenCompute/llvm-project roc-6.4.0 25133 c7fe45cf4b819c5991fe208aaa96edf142730f1d)"
	.section	".note.GNU-stack","",@progbits
	.addrsig
	.addrsig_sym __hip_cuid_3b04b95e5a4775d
	.amdgpu_metadata
---
amdhsa.kernels:
  - .args:
      - .actual_access:  read_only
        .address_space:  global
        .offset:         0
        .size:           8
        .value_kind:     global_buffer
      - .actual_access:  read_only
        .address_space:  global
        .offset:         8
        .size:           8
        .value_kind:     global_buffer
      - .actual_access:  read_only
        .address_space:  global
        .offset:         16
        .size:           8
        .value_kind:     global_buffer
      - .actual_access:  read_only
        .address_space:  global
        .offset:         24
        .size:           8
        .value_kind:     global_buffer
      - .actual_access:  read_only
        .address_space:  global
        .offset:         32
        .size:           8
        .value_kind:     global_buffer
      - .offset:         40
        .size:           8
        .value_kind:     by_value
      - .address_space:  global
        .offset:         48
        .size:           8
        .value_kind:     global_buffer
      - .address_space:  global
        .offset:         56
        .size:           8
        .value_kind:     global_buffer
      - .address_space:  global
        .offset:         64
        .size:           8
        .value_kind:     global_buffer
      - .address_space:  global
        .offset:         72
        .size:           8
        .value_kind:     global_buffer
      - .offset:         80
        .size:           4
        .value_kind:     by_value
      - .address_space:  global
        .offset:         88
        .size:           8
        .value_kind:     global_buffer
      - .address_space:  global
        .offset:         96
        .size:           8
        .value_kind:     global_buffer
    .group_segment_fixed_size: 24576
    .kernarg_segment_align: 8
    .kernarg_segment_size: 104
    .language:       OpenCL C
    .language_version:
      - 2
      - 0
    .max_flat_workgroup_size: 256
    .name:           bluestein_single_fwd_len1536_dim1_dp_op_CI_CI
    .private_segment_fixed_size: 0
    .sgpr_count:     24
    .sgpr_spill_count: 0
    .symbol:         bluestein_single_fwd_len1536_dim1_dp_op_CI_CI.kd
    .uniform_work_group_size: 1
    .uses_dynamic_stack: false
    .vgpr_count:     226
    .vgpr_spill_count: 0
    .wavefront_size: 32
    .workgroup_processor_mode: 1
amdhsa.target:   amdgcn-amd-amdhsa--gfx1100
amdhsa.version:
  - 1
  - 2
...

	.end_amdgpu_metadata
